;; amdgpu-corpus repo=ROCm/rocFFT kind=compiled arch=gfx906 opt=O3
	.text
	.amdgcn_target "amdgcn-amd-amdhsa--gfx906"
	.amdhsa_code_object_version 6
	.protected	fft_rtc_back_len48_factors_4_2_6_wgs_60_tpt_6_halfLds_dim1_sp_op_CI_CI_unitstride_sbrr_C2R_dirReg ; -- Begin function fft_rtc_back_len48_factors_4_2_6_wgs_60_tpt_6_halfLds_dim1_sp_op_CI_CI_unitstride_sbrr_C2R_dirReg
	.globl	fft_rtc_back_len48_factors_4_2_6_wgs_60_tpt_6_halfLds_dim1_sp_op_CI_CI_unitstride_sbrr_C2R_dirReg
	.p2align	8
	.type	fft_rtc_back_len48_factors_4_2_6_wgs_60_tpt_6_halfLds_dim1_sp_op_CI_CI_unitstride_sbrr_C2R_dirReg,@function
fft_rtc_back_len48_factors_4_2_6_wgs_60_tpt_6_halfLds_dim1_sp_op_CI_CI_unitstride_sbrr_C2R_dirReg: ; @fft_rtc_back_len48_factors_4_2_6_wgs_60_tpt_6_halfLds_dim1_sp_op_CI_CI_unitstride_sbrr_C2R_dirReg
; %bb.0:
	v_mul_u32_u24_e32 v1, 0x2aab, v0
	v_lshrrev_b32_e32 v1, 16, v1
	v_mad_u64_u32 v[18:19], s[0:1], s6, 10, v[1:2]
	s_mov_b32 s0, 0xcccccccd
	s_load_dwordx4 s[8:11], s[4:5], 0x18
	v_mul_hi_u32 v2, v18, s0
	v_mov_b32_e32 v19, 0
	s_movk_i32 s2, 0x2aab
                                        ; implicit-def: $vgpr4
                                        ; implicit-def: $vgpr16
	s_waitcnt lgkmcnt(0)
	v_cmp_gt_u64_e32 vcc, s[10:11], v[18:19]
	v_lshrrev_b32_e32 v2, 3, v2
	v_mul_lo_u32 v2, v2, 10
	v_cmp_le_u64_e64 s[0:1], s[10:11], v[18:19]
	v_sub_u32_e32 v2, v18, v2
	s_and_saveexec_b64 s[6:7], s[0:1]
	s_xor_b64 s[0:1], exec, s[6:7]
; %bb.1:
	v_mul_u32_u24_sdwa v1, v0, s2 dst_sel:DWORD dst_unused:UNUSED_PAD src0_sel:WORD_0 src1_sel:DWORD
	v_mov_b32_e32 v3, 6
	v_mul_lo_u16_sdwa v1, v1, v3 dst_sel:DWORD dst_unused:UNUSED_PAD src0_sel:WORD_1 src1_sel:DWORD
	v_sub_u16_e32 v4, v0, v1
	v_sub_u16_e32 v16, v0, v1
                                        ; implicit-def: $vgpr1
                                        ; implicit-def: $vgpr0
; %bb.2:
	s_or_saveexec_b64 s[10:11], s[0:1]
	s_load_dwordx2 s[6:7], s[4:5], 0x0
	s_load_dwordx2 s[2:3], s[8:9], 0x8
	v_mul_u32_u24_e32 v3, 49, v2
	v_lshlrev_b32_e32 v2, 3, v3
	s_xor_b64 exec, exec, s[10:11]
	s_cbranch_execz .LBB0_6
; %bb.3:
	s_load_dwordx2 s[0:1], s[4:5], 0x10
	s_load_dwordx2 s[8:9], s[4:5], 0x50
	v_mul_lo_u16_e32 v4, 6, v1
	v_sub_u16_e32 v4, v0, v4
	v_lshlrev_b32_e32 v17, 3, v4
	s_waitcnt lgkmcnt(0)
	s_load_dwordx2 s[0:1], s[0:1], 0x8
	s_waitcnt lgkmcnt(0)
	v_mad_u64_u32 v[5:6], s[12:13], s0, v18, 0
	v_mov_b32_e32 v1, v6
	v_mad_u64_u32 v[6:7], s[0:1], s1, v18, v[1:2]
	v_mov_b32_e32 v7, s9
	v_lshlrev_b64 v[0:1], 3, v[5:6]
	v_add_co_u32_e64 v0, s[0:1], s8, v0
	v_addc_co_u32_e64 v1, s[0:1], v7, v1, s[0:1]
	v_add_co_u32_e64 v5, s[0:1], v0, v17
	v_addc_co_u32_e64 v6, s[0:1], 0, v1, s[0:1]
	global_load_dwordx2 v[7:8], v[5:6], off
	global_load_dwordx2 v[9:10], v[5:6], off offset:48
	global_load_dwordx2 v[11:12], v[5:6], off offset:96
	;; [unrolled: 1-line block ×7, first 2 shown]
	v_add3_u32 v5, 0, v2, v17
	v_cmp_eq_u16_e64 s[0:1], 5, v4
	s_waitcnt vmcnt(6)
	ds_write2_b64 v5, v[7:8], v[9:10] offset1:6
	s_waitcnt vmcnt(4)
	ds_write2_b64 v5, v[11:12], v[13:14] offset0:12 offset1:18
	s_waitcnt vmcnt(2)
	ds_write2_b64 v5, v[15:16], v[19:20] offset0:24 offset1:30
	;; [unrolled: 2-line block ×3, first 2 shown]
	v_mov_b32_e32 v16, v4
	s_and_saveexec_b64 s[8:9], s[0:1]
	s_cbranch_execz .LBB0_5
; %bb.4:
	global_load_dwordx2 v[0:1], v[0:1], off offset:384
	v_mov_b32_e32 v4, 5
	v_mov_b32_e32 v16, 5
	s_waitcnt vmcnt(0)
	ds_write_b64 v5, v[0:1] offset:344
.LBB0_5:
	s_or_b64 exec, exec, s[8:9]
.LBB0_6:
	s_or_b64 exec, exec, s[10:11]
	v_lshl_add_u32 v27, v3, 3, 0
	v_lshlrev_b32_e32 v6, 3, v16
	v_add_u32_e32 v5, v27, v6
	s_waitcnt lgkmcnt(0)
	; wave barrier
	s_waitcnt lgkmcnt(0)
	v_sub_u32_e32 v3, v27, v6
	ds_read_b32 v7, v5
	ds_read_b32 v8, v3 offset:384
	v_cmp_ne_u16_e64 s[0:1], 0, v4
	s_waitcnt lgkmcnt(0)
	v_add_f32_e32 v0, v8, v7
	v_sub_f32_e32 v1, v7, v8
	s_and_saveexec_b64 s[8:9], s[0:1]
	s_xor_b64 s[0:1], exec, s[8:9]
	s_cbranch_execz .LBB0_8
; %bb.7:
	v_mov_b32_e32 v0, 3
	v_lshlrev_b32_sdwa v0, v0, v4 dst_sel:DWORD dst_unused:UNUSED_PAD src0_sel:DWORD src1_sel:WORD_0
	global_load_dwordx2 v[9:10], v0, s[6:7] offset:352
	ds_read_b32 v0, v3 offset:388
	ds_read_b32 v1, v5 offset:4
	v_add_f32_e32 v11, v8, v7
	v_sub_f32_e32 v12, v7, v8
	s_waitcnt lgkmcnt(0)
	v_add_f32_e32 v13, v0, v1
	v_sub_f32_e32 v0, v1, v0
	s_waitcnt vmcnt(0)
	v_fma_f32 v7, -v12, v10, v11
	v_fma_f32 v8, v13, v10, -v0
	v_fma_f32 v14, v12, v10, v11
	v_fma_f32 v1, v13, v10, v0
	v_fmac_f32_e32 v7, v9, v13
	v_fmac_f32_e32 v8, v12, v9
	v_fma_f32 v0, -v9, v13, v14
	v_fmac_f32_e32 v1, v12, v9
	ds_write_b64 v3, v[7:8] offset:384
.LBB0_8:
	s_andn2_saveexec_b64 s[0:1], s[0:1]
	s_cbranch_execz .LBB0_10
; %bb.9:
	ds_read_b64 v[7:8], v27 offset:192
	s_waitcnt lgkmcnt(0)
	v_add_f32_e32 v7, v7, v7
	v_mul_f32_e32 v8, -2.0, v8
	ds_write_b64 v27, v[7:8] offset:192
.LBB0_10:
	s_or_b64 exec, exec, s[0:1]
	v_mov_b32_e32 v17, 0
	s_add_u32 s0, s6, 0x160
	v_lshlrev_b64 v[7:8], 3, v[16:17]
	s_addc_u32 s1, s7, 0
	v_mov_b32_e32 v9, s1
	v_add_co_u32_e64 v7, s[0:1], s0, v7
	v_addc_co_u32_e64 v8, s[0:1], v9, v8, s[0:1]
	global_load_dwordx2 v[9:10], v[7:8], off offset:48
	global_load_dwordx2 v[11:12], v[7:8], off offset:96
	global_load_dwordx2 v[13:14], v[7:8], off offset:144
	ds_write_b64 v5, v[0:1]
	ds_read_b64 v[0:1], v5 offset:48
	ds_read_b64 v[7:8], v3 offset:336
	v_add_u32_e32 v24, 18, v16
	s_movk_i32 s0, 0xffe8
	s_waitcnt lgkmcnt(0)
	v_add_f32_e32 v15, v0, v7
	v_add_f32_e32 v17, v8, v1
	v_sub_f32_e32 v19, v0, v7
	v_sub_f32_e32 v7, v1, v8
	s_waitcnt vmcnt(2)
	v_fma_f32 v20, v19, v10, v15
	v_fma_f32 v8, v17, v10, v7
	v_fma_f32 v0, -v19, v10, v15
	v_fma_f32 v1, v17, v10, -v7
	v_fma_f32 v7, -v9, v17, v20
	v_fmac_f32_e32 v8, v19, v9
	v_fmac_f32_e32 v0, v9, v17
	;; [unrolled: 1-line block ×3, first 2 shown]
	ds_write_b64 v5, v[7:8] offset:48
	ds_write_b64 v3, v[0:1] offset:336
	ds_read_b64 v[0:1], v5 offset:96
	ds_read_b64 v[7:8], v3 offset:288
	v_add3_u32 v19, 0, v6, v2
	v_add_u32_e32 v17, 6, v16
	v_mad_u32_u24 v25, v16, 24, v19
	s_waitcnt lgkmcnt(0)
	v_add_f32_e32 v6, v0, v7
	v_add_f32_e32 v9, v8, v1
	v_sub_f32_e32 v10, v0, v7
	v_sub_f32_e32 v0, v1, v8
	s_waitcnt vmcnt(1)
	v_fma_f32 v8, v10, v12, v6
	v_fma_f32 v1, v9, v12, v0
	v_fma_f32 v6, -v10, v12, v6
	v_fma_f32 v7, v9, v12, -v0
	v_fma_f32 v0, -v11, v9, v8
	v_fmac_f32_e32 v1, v10, v11
	v_fmac_f32_e32 v6, v11, v9
	;; [unrolled: 1-line block ×3, first 2 shown]
	ds_write_b64 v5, v[0:1] offset:96
	ds_write_b64 v3, v[6:7] offset:288
	ds_read_b64 v[0:1], v5 offset:144
	ds_read_b64 v[6:7], v3 offset:240
	v_lshlrev_b32_e32 v8, 5, v17
	v_add3_u32 v26, 0, v8, v2
	s_waitcnt lgkmcnt(0)
	v_add_f32_e32 v8, v0, v6
	v_add_f32_e32 v9, v7, v1
	v_sub_f32_e32 v10, v0, v6
	v_sub_f32_e32 v0, v1, v7
	s_waitcnt vmcnt(0)
	v_fma_f32 v11, v10, v14, v8
	v_fma_f32 v1, v9, v14, v0
	v_fma_f32 v6, -v10, v14, v8
	v_fma_f32 v7, v9, v14, -v0
	v_fma_f32 v0, -v13, v9, v11
	v_fmac_f32_e32 v1, v10, v13
	v_fmac_f32_e32 v6, v13, v9
	;; [unrolled: 1-line block ×3, first 2 shown]
	ds_write_b64 v5, v[0:1] offset:144
	ds_write_b64 v3, v[6:7] offset:240
	s_waitcnt lgkmcnt(0)
	; wave barrier
	s_waitcnt lgkmcnt(0)
	s_waitcnt lgkmcnt(0)
	; wave barrier
	s_waitcnt lgkmcnt(0)
	ds_read2_b64 v[6:9], v19 offset0:18 offset1:24
	ds_read_b64 v[0:1], v5
	ds_read_b64 v[14:15], v19 offset:336
	ds_read2_b64 v[10:13], v19 offset0:6 offset1:12
	ds_read2_b64 v[20:23], v19 offset0:30 offset1:36
	s_waitcnt lgkmcnt(0)
	v_sub_f32_e32 v3, v0, v8
	v_sub_f32_e32 v28, v1, v9
	;; [unrolled: 1-line block ×8, first 2 shown]
	v_fma_f32 v22, v0, 2.0, -v3
	v_fma_f32 v23, v1, 2.0, -v28
	;; [unrolled: 1-line block ×3, first 2 shown]
	v_add_f32_e32 v0, v3, v9
	v_fma_f32 v9, v13, 2.0, -v9
	v_sub_f32_e32 v1, v28, v8
	v_fma_f32 v29, v10, 2.0, -v20
	v_fma_f32 v30, v11, 2.0, -v21
	;; [unrolled: 1-line block ×4, first 2 shown]
	v_sub_f32_e32 v8, v22, v12
	v_sub_f32_e32 v9, v23, v9
	; wave barrier
	v_add_f32_e32 v6, v20, v15
	v_sub_f32_e32 v7, v21, v14
	v_fma_f32 v10, v3, 2.0, -v0
	v_fma_f32 v11, v28, 2.0, -v1
	v_sub_f32_e32 v12, v29, v13
	v_sub_f32_e32 v13, v30, v31
	ds_write2_b64 v25, v[8:9], v[0:1] offset0:2 offset1:3
	v_fma_f32 v0, v22, 2.0, -v8
	v_fma_f32 v1, v23, 2.0, -v9
	;; [unrolled: 1-line block ×6, first 2 shown]
	ds_write2_b64 v25, v[0:1], v[10:11] offset1:1
	ds_write2_b64 v26, v[8:9], v[14:15] offset1:1
	ds_write2_b64 v26, v[12:13], v[6:7] offset0:2 offset1:3
	v_and_b32_e32 v0, 3, v24
	v_lshlrev_b32_e32 v1, 3, v0
	v_and_b32_e32 v3, 3, v16
	s_waitcnt lgkmcnt(0)
	; wave barrier
	s_waitcnt lgkmcnt(0)
	v_lshlrev_b32_e32 v6, 3, v3
	global_load_dword v26, v1, s[6:7] offset:4
	global_load_dwordx2 v[14:15], v1, s[6:7]
	global_load_dwordx2 v[20:21], v6, s[6:7]
	v_and_b32_e32 v1, 3, v17
	v_lshlrev_b32_e32 v6, 3, v1
	global_load_dword v29, v6, s[6:7]
	v_lshlrev_b32_e32 v6, 1, v16
	v_and_or_b32 v7, v6, 8, v3
	v_lshlrev_b32_e32 v8, 1, v17
	v_add_u32_e32 v6, 24, v6
	v_lshlrev_b32_e32 v9, 1, v24
	v_and_or_b32 v1, v8, 24, v1
	v_and_or_b32 v3, v6, 56, v3
	v_and_or_b32 v0, v9, 56, v0
	v_lshlrev_b32_e32 v7, 3, v7
	v_lshlrev_b32_e32 v1, 3, v1
	;; [unrolled: 1-line block ×4, first 2 shown]
	v_mad_i32_i24 v28, v16, s0, v25
	v_add3_u32 v30, 0, v7, v2
	v_add3_u32 v31, 0, v1, v2
	;; [unrolled: 1-line block ×4, first 2 shown]
	ds_read2_b64 v[0:3], v19 offset0:36 offset1:42
	ds_read2_b64 v[6:9], v19 offset0:24 offset1:30
	ds_read_b64 v[22:23], v5
	ds_read_b64 v[24:25], v28 offset:144
	ds_read2_b64 v[10:13], v28 offset0:6 offset1:12
	s_waitcnt lgkmcnt(0)
	; wave barrier
	s_waitcnt lgkmcnt(0)
	v_cmp_gt_u16_e64 s[0:1], 2, v4
	s_waitcnt vmcnt(3)
	v_mul_f32_e32 v34, v26, v3
	v_mul_f32_e32 v26, v26, v2
	s_waitcnt vmcnt(1)
	v_mul_f32_e32 v35, v21, v1
	v_mul_f32_e32 v36, v21, v0
	;; [unrolled: 1-line block ×6, first 2 shown]
	v_fmac_f32_e32 v35, v20, v0
	v_fma_f32 v0, v20, v1, -v36
	v_fmac_f32_e32 v34, v14, v2
	v_fma_f32 v1, v14, v3, -v26
	;; [unrolled: 2-line block ×3, first 2 shown]
	s_waitcnt vmcnt(0)
	v_fmac_f32_e32 v38, v29, v8
	v_fma_f32 v3, v29, v9, -v15
	v_sub_f32_e32 v6, v22, v37
	v_sub_f32_e32 v7, v23, v2
	;; [unrolled: 1-line block ×8, first 2 shown]
	v_fma_f32 v20, v22, 2.0, -v6
	v_fma_f32 v21, v23, 2.0, -v7
	;; [unrolled: 1-line block ×8, first 2 shown]
	ds_write2_b64 v30, v[20:21], v[6:7] offset1:4
	ds_write2_b64 v31, v[10:11], v[8:9] offset1:4
	;; [unrolled: 1-line block ×4, first 2 shown]
	s_waitcnt lgkmcnt(0)
	; wave barrier
	s_waitcnt lgkmcnt(0)
	ds_read2_b64 v[12:15], v28 offset0:8 offset1:16
	ds_read_b64 v[23:24], v5
	ds_read_b64 v[25:26], v19 offset:192
	ds_read2_b64 v[8:11], v28 offset0:32 offset1:40
                                        ; implicit-def: $vgpr22
                                        ; implicit-def: $vgpr20
                                        ; implicit-def: $vgpr7
	s_and_saveexec_b64 s[8:9], s[0:1]
	s_cbranch_execz .LBB0_12
; %bb.11:
	ds_read2_b64 v[0:3], v28 offset0:6 offset1:14
	ds_read2_b64 v[4:7], v28 offset0:22 offset1:38
	ds_read_b64 v[19:20], v19 offset:240
	ds_read_b64 v[21:22], v28 offset:368
.LBB0_12:
	s_or_b64 exec, exec, s[8:9]
	v_mul_u32_u24_e32 v29, 5, v16
	v_lshlrev_b32_e32 v39, 3, v29
	global_load_dwordx4 v[29:32], v39, s[6:7] offset:32
	global_load_dwordx4 v[33:36], v39, s[6:7] offset:48
	global_load_dwordx2 v[37:38], v39, s[6:7] offset:64
	s_waitcnt lgkmcnt(0)
	; wave barrier
	s_waitcnt vmcnt(2) lgkmcnt(0)
	v_mul_f32_e32 v39, v30, v13
	v_mul_f32_e32 v30, v30, v12
	;; [unrolled: 1-line block ×3, first 2 shown]
	s_waitcnt vmcnt(1)
	v_mul_f32_e32 v41, v34, v26
	v_mul_f32_e32 v34, v34, v25
	;; [unrolled: 1-line block ×4, first 2 shown]
	s_waitcnt vmcnt(0)
	v_mul_f32_e32 v43, v38, v11
	v_mul_f32_e32 v38, v38, v10
	;; [unrolled: 1-line block ×3, first 2 shown]
	v_fmac_f32_e32 v39, v29, v12
	v_fma_f32 v12, v29, v13, -v30
	v_fmac_f32_e32 v40, v31, v14
	v_fma_f32 v14, v33, v26, -v34
	;; [unrolled: 2-line block ×3, first 2 shown]
	v_fma_f32 v9, v37, v11, -v38
	v_fma_f32 v13, v31, v15, -v32
	v_fmac_f32_e32 v41, v33, v25
	v_fmac_f32_e32 v43, v37, v10
	v_add_f32_e32 v11, v40, v42
	v_sub_f32_e32 v31, v14, v9
	v_add_f32_e32 v32, v12, v14
	v_add_f32_e32 v14, v14, v9
	;; [unrolled: 1-line block ×3, first 2 shown]
	v_sub_f32_e32 v15, v13, v8
	v_add_f32_e32 v25, v24, v13
	v_add_f32_e32 v13, v13, v8
	v_add_f32_e32 v29, v39, v41
	v_add_f32_e32 v30, v41, v43
	v_sub_f32_e32 v33, v41, v43
	v_fma_f32 v23, -0.5, v11, v23
	v_fmac_f32_e32 v12, -0.5, v14
	v_add_f32_e32 v11, v25, v8
	v_fmac_f32_e32 v24, -0.5, v13
	v_add_f32_e32 v13, v29, v43
	;; [unrolled: 2-line block ×3, first 2 shown]
	v_mov_b32_e32 v29, v23
	v_mov_b32_e32 v32, v12
	v_fmac_f32_e32 v12, 0xbf5db3d7, v33
	v_sub_f32_e32 v26, v40, v42
	v_fmac_f32_e32 v23, 0x3f5db3d7, v15
	v_mov_b32_e32 v30, v24
	v_mov_b32_e32 v14, v39
	v_fmac_f32_e32 v39, 0x3f5db3d7, v31
	v_add_f32_e32 v9, v11, v25
	v_sub_f32_e32 v11, v11, v25
	v_fmac_f32_e32 v29, 0xbf5db3d7, v15
	v_fmac_f32_e32 v32, 0x3f5db3d7, v33
	v_mul_f32_e32 v15, 0xbf5db3d7, v12
	v_mul_f32_e32 v25, -0.5, v12
	v_add_f32_e32 v10, v10, v42
	v_fmac_f32_e32 v24, 0xbf5db3d7, v26
	v_fmac_f32_e32 v30, 0x3f5db3d7, v26
	;; [unrolled: 1-line block ×3, first 2 shown]
	v_mul_f32_e32 v26, 0xbf5db3d7, v32
	v_fmac_f32_e32 v15, -0.5, v39
	v_mul_f32_e32 v31, 0.5, v32
	v_fmac_f32_e32 v25, 0x3f5db3d7, v39
	v_add_f32_e32 v8, v10, v13
	v_sub_f32_e32 v10, v10, v13
	v_fmac_f32_e32 v26, 0.5, v14
	v_add_f32_e32 v12, v23, v15
	v_fmac_f32_e32 v31, 0x3f5db3d7, v14
	v_add_f32_e32 v13, v24, v25
	v_sub_f32_e32 v14, v23, v15
	v_sub_f32_e32 v15, v24, v25
	v_add_f32_e32 v23, v29, v26
	v_add_f32_e32 v24, v30, v31
	v_sub_f32_e32 v25, v29, v26
	v_sub_f32_e32 v26, v30, v31
	ds_write2_b64 v28, v[12:13], v[10:11] offset0:16 offset1:24
	ds_write2_b64 v28, v[8:9], v[23:24] offset1:8
	ds_write2_b64 v28, v[25:26], v[14:15] offset0:32 offset1:40
	s_and_saveexec_b64 s[8:9], s[0:1]
	s_cbranch_execz .LBB0_14
; %bb.13:
	v_and_b32_e32 v8, 7, v17
	v_mul_u32_u24_e32 v8, 5, v8
	v_lshlrev_b32_e32 v17, 3, v8
	global_load_dwordx4 v[8:11], v17, s[6:7] offset:32
	global_load_dwordx4 v[12:15], v17, s[6:7] offset:48
	global_load_dwordx2 v[23:24], v17, s[6:7] offset:64
	s_waitcnt vmcnt(2)
	v_mul_f32_e32 v17, v4, v11
	s_waitcnt vmcnt(1)
	v_mul_f32_e32 v25, v6, v15
	v_mul_f32_e32 v11, v5, v11
	v_mul_f32_e32 v26, v3, v9
	v_mul_f32_e32 v29, v20, v13
	s_waitcnt vmcnt(0)
	v_mul_f32_e32 v30, v22, v24
	v_mul_f32_e32 v13, v19, v13
	;; [unrolled: 1-line block ×5, first 2 shown]
	v_fma_f32 v5, v5, v10, -v17
	v_fma_f32 v7, v7, v14, -v25
	v_fmac_f32_e32 v11, v4, v10
	v_fmac_f32_e32 v26, v2, v8
	v_fma_f32 v2, v20, v12, -v13
	v_fma_f32 v4, v22, v23, -v24
	v_fmac_f32_e32 v15, v6, v14
	v_fmac_f32_e32 v29, v19, v12
	;; [unrolled: 1-line block ×3, first 2 shown]
	v_fma_f32 v3, v3, v8, -v9
	v_add_f32_e32 v6, v5, v7
	v_add_f32_e32 v12, v2, v4
	v_sub_f32_e32 v8, v11, v15
	v_add_f32_e32 v9, v29, v30
	v_sub_f32_e32 v10, v2, v4
	v_sub_f32_e32 v13, v29, v30
	v_add_f32_e32 v14, v1, v5
	v_add_f32_e32 v2, v3, v2
	;; [unrolled: 1-line block ×5, first 2 shown]
	v_fma_f32 v6, -0.5, v6, v1
	v_fma_f32 v12, -0.5, v12, v3
	v_sub_f32_e32 v5, v5, v7
	v_fma_f32 v9, -0.5, v9, v26
	v_add_f32_e32 v3, v14, v7
	v_add_f32_e32 v2, v2, v4
	v_fma_f32 v14, -0.5, v17, v0
	v_add_f32_e32 v4, v11, v15
	v_add_f32_e32 v7, v19, v30
	v_mov_b32_e32 v11, v6
	v_mov_b32_e32 v17, v12
	v_fmac_f32_e32 v12, 0x3f5db3d7, v13
	v_mov_b32_e32 v15, v9
	v_fmac_f32_e32 v6, 0x3f5db3d7, v8
	v_fmac_f32_e32 v9, 0xbf5db3d7, v10
	v_sub_f32_e32 v1, v3, v2
	v_sub_f32_e32 v0, v4, v7
	v_add_f32_e32 v3, v3, v2
	v_add_f32_e32 v2, v4, v7
	v_fmac_f32_e32 v11, 0xbf5db3d7, v8
	v_fmac_f32_e32 v17, 0xbf5db3d7, v13
	v_mul_f32_e32 v7, 0.5, v12
	v_mul_f32_e32 v8, 0xbf5db3d7, v12
	v_mov_b32_e32 v19, v14
	v_fmac_f32_e32 v14, 0xbf5db3d7, v5
	v_fmac_f32_e32 v15, 0x3f5db3d7, v10
	v_mul_f32_e32 v10, -0.5, v17
	v_fmac_f32_e32 v7, 0x3f5db3d7, v9
	v_mul_f32_e32 v12, 0xbf5db3d7, v17
	v_fmac_f32_e32 v8, 0.5, v9
	v_fmac_f32_e32 v19, 0x3f5db3d7, v5
	v_fmac_f32_e32 v10, 0x3f5db3d7, v15
	v_sub_f32_e32 v5, v6, v7
	v_fmac_f32_e32 v12, -0.5, v15
	v_add_f32_e32 v7, v6, v7
	v_add_f32_e32 v6, v14, v8
	v_sub_f32_e32 v4, v14, v8
	v_sub_f32_e32 v9, v11, v10
	;; [unrolled: 1-line block ×3, first 2 shown]
	v_add_f32_e32 v11, v11, v10
	v_add_f32_e32 v10, v19, v12
	ds_write2_b64 v28, v[2:3], v[6:7] offset0:6 offset1:14
	ds_write2_b64 v28, v[10:11], v[0:1] offset0:22 offset1:30
	;; [unrolled: 1-line block ×3, first 2 shown]
.LBB0_14:
	s_or_b64 exec, exec, s[8:9]
	s_waitcnt lgkmcnt(0)
	; wave barrier
	s_waitcnt lgkmcnt(0)
	s_and_saveexec_b64 s[0:1], vcc
	s_cbranch_execz .LBB0_16
; %bb.15:
	v_mad_u64_u32 v[0:1], s[0:1], s2, v18, 0
	s_load_dwordx2 s[0:1], s[4:5], 0x58
	v_lshl_add_u32 v6, v16, 3, v27
	v_mad_u64_u32 v[1:2], s[2:3], s3, v18, v[1:2]
	v_mov_b32_e32 v17, 0
	s_waitcnt lgkmcnt(0)
	v_mov_b32_e32 v2, s1
	v_lshlrev_b64 v[0:1], 3, v[0:1]
	v_lshlrev_b64 v[4:5], 3, v[16:17]
	v_add_co_u32_e32 v7, vcc, s0, v0
	v_addc_co_u32_e32 v8, vcc, v2, v1, vcc
	ds_read2_b64 v[0:3], v6 offset1:6
	v_add_co_u32_e32 v4, vcc, v7, v4
	v_addc_co_u32_e32 v5, vcc, v8, v5, vcc
	s_waitcnt lgkmcnt(0)
	global_store_dwordx2 v[4:5], v[0:1], off
	v_add_u32_e32 v0, 6, v16
	v_mov_b32_e32 v1, v17
	v_lshlrev_b64 v[0:1], 3, v[0:1]
	v_add_u32_e32 v4, 12, v16
	v_add_co_u32_e32 v0, vcc, v7, v0
	v_addc_co_u32_e32 v1, vcc, v8, v1, vcc
	global_store_dwordx2 v[0:1], v[2:3], off
	v_mov_b32_e32 v5, v17
	ds_read2_b64 v[0:3], v6 offset0:12 offset1:18
	v_lshlrev_b64 v[4:5], 3, v[4:5]
	v_add_co_u32_e32 v4, vcc, v7, v4
	v_addc_co_u32_e32 v5, vcc, v8, v5, vcc
	s_waitcnt lgkmcnt(0)
	global_store_dwordx2 v[4:5], v[0:1], off
	v_add_u32_e32 v0, 18, v16
	v_mov_b32_e32 v1, v17
	v_lshlrev_b64 v[0:1], 3, v[0:1]
	v_add_u32_e32 v4, 24, v16
	v_add_co_u32_e32 v0, vcc, v7, v0
	v_addc_co_u32_e32 v1, vcc, v8, v1, vcc
	global_store_dwordx2 v[0:1], v[2:3], off
	v_mov_b32_e32 v5, v17
	ds_read2_b64 v[0:3], v6 offset0:24 offset1:30
	v_lshlrev_b64 v[4:5], 3, v[4:5]
	;; [unrolled: 14-line block ×3, first 2 shown]
	v_add_u32_e32 v16, 42, v16
	v_add_co_u32_e32 v4, vcc, v7, v4
	v_addc_co_u32_e32 v5, vcc, v8, v5, vcc
	s_waitcnt lgkmcnt(0)
	global_store_dwordx2 v[4:5], v[0:1], off
	v_lshlrev_b64 v[0:1], 3, v[16:17]
	v_add_co_u32_e32 v0, vcc, v7, v0
	v_addc_co_u32_e32 v1, vcc, v8, v1, vcc
	global_store_dwordx2 v[0:1], v[2:3], off
.LBB0_16:
	s_endpgm
	.section	.rodata,"a",@progbits
	.p2align	6, 0x0
	.amdhsa_kernel fft_rtc_back_len48_factors_4_2_6_wgs_60_tpt_6_halfLds_dim1_sp_op_CI_CI_unitstride_sbrr_C2R_dirReg
		.amdhsa_group_segment_fixed_size 0
		.amdhsa_private_segment_fixed_size 0
		.amdhsa_kernarg_size 96
		.amdhsa_user_sgpr_count 6
		.amdhsa_user_sgpr_private_segment_buffer 1
		.amdhsa_user_sgpr_dispatch_ptr 0
		.amdhsa_user_sgpr_queue_ptr 0
		.amdhsa_user_sgpr_kernarg_segment_ptr 1
		.amdhsa_user_sgpr_dispatch_id 0
		.amdhsa_user_sgpr_flat_scratch_init 0
		.amdhsa_user_sgpr_private_segment_size 0
		.amdhsa_uses_dynamic_stack 0
		.amdhsa_system_sgpr_private_segment_wavefront_offset 0
		.amdhsa_system_sgpr_workgroup_id_x 1
		.amdhsa_system_sgpr_workgroup_id_y 0
		.amdhsa_system_sgpr_workgroup_id_z 0
		.amdhsa_system_sgpr_workgroup_info 0
		.amdhsa_system_vgpr_workitem_id 0
		.amdhsa_next_free_vgpr 44
		.amdhsa_next_free_sgpr 14
		.amdhsa_reserve_vcc 1
		.amdhsa_reserve_flat_scratch 0
		.amdhsa_float_round_mode_32 0
		.amdhsa_float_round_mode_16_64 0
		.amdhsa_float_denorm_mode_32 3
		.amdhsa_float_denorm_mode_16_64 3
		.amdhsa_dx10_clamp 1
		.amdhsa_ieee_mode 1
		.amdhsa_fp16_overflow 0
		.amdhsa_exception_fp_ieee_invalid_op 0
		.amdhsa_exception_fp_denorm_src 0
		.amdhsa_exception_fp_ieee_div_zero 0
		.amdhsa_exception_fp_ieee_overflow 0
		.amdhsa_exception_fp_ieee_underflow 0
		.amdhsa_exception_fp_ieee_inexact 0
		.amdhsa_exception_int_div_zero 0
	.end_amdhsa_kernel
	.text
.Lfunc_end0:
	.size	fft_rtc_back_len48_factors_4_2_6_wgs_60_tpt_6_halfLds_dim1_sp_op_CI_CI_unitstride_sbrr_C2R_dirReg, .Lfunc_end0-fft_rtc_back_len48_factors_4_2_6_wgs_60_tpt_6_halfLds_dim1_sp_op_CI_CI_unitstride_sbrr_C2R_dirReg
                                        ; -- End function
	.section	.AMDGPU.csdata,"",@progbits
; Kernel info:
; codeLenInByte = 3188
; NumSgprs: 18
; NumVgprs: 44
; ScratchSize: 0
; MemoryBound: 0
; FloatMode: 240
; IeeeMode: 1
; LDSByteSize: 0 bytes/workgroup (compile time only)
; SGPRBlocks: 2
; VGPRBlocks: 10
; NumSGPRsForWavesPerEU: 18
; NumVGPRsForWavesPerEU: 44
; Occupancy: 5
; WaveLimiterHint : 1
; COMPUTE_PGM_RSRC2:SCRATCH_EN: 0
; COMPUTE_PGM_RSRC2:USER_SGPR: 6
; COMPUTE_PGM_RSRC2:TRAP_HANDLER: 0
; COMPUTE_PGM_RSRC2:TGID_X_EN: 1
; COMPUTE_PGM_RSRC2:TGID_Y_EN: 0
; COMPUTE_PGM_RSRC2:TGID_Z_EN: 0
; COMPUTE_PGM_RSRC2:TIDIG_COMP_CNT: 0
	.type	__hip_cuid_18e9a3f98939546e,@object ; @__hip_cuid_18e9a3f98939546e
	.section	.bss,"aw",@nobits
	.globl	__hip_cuid_18e9a3f98939546e
__hip_cuid_18e9a3f98939546e:
	.byte	0                               ; 0x0
	.size	__hip_cuid_18e9a3f98939546e, 1

	.ident	"AMD clang version 19.0.0git (https://github.com/RadeonOpenCompute/llvm-project roc-6.4.0 25133 c7fe45cf4b819c5991fe208aaa96edf142730f1d)"
	.section	".note.GNU-stack","",@progbits
	.addrsig
	.addrsig_sym __hip_cuid_18e9a3f98939546e
	.amdgpu_metadata
---
amdhsa.kernels:
  - .args:
      - .actual_access:  read_only
        .address_space:  global
        .offset:         0
        .size:           8
        .value_kind:     global_buffer
      - .actual_access:  read_only
        .address_space:  global
        .offset:         8
        .size:           8
        .value_kind:     global_buffer
      - .actual_access:  read_only
        .address_space:  global
        .offset:         16
        .size:           8
        .value_kind:     global_buffer
      - .actual_access:  read_only
        .address_space:  global
        .offset:         24
        .size:           8
        .value_kind:     global_buffer
      - .offset:         32
        .size:           8
        .value_kind:     by_value
      - .actual_access:  read_only
        .address_space:  global
        .offset:         40
        .size:           8
        .value_kind:     global_buffer
      - .actual_access:  read_only
        .address_space:  global
        .offset:         48
        .size:           8
        .value_kind:     global_buffer
      - .offset:         56
        .size:           4
        .value_kind:     by_value
      - .actual_access:  read_only
        .address_space:  global
        .offset:         64
        .size:           8
        .value_kind:     global_buffer
      - .actual_access:  read_only
        .address_space:  global
        .offset:         72
        .size:           8
        .value_kind:     global_buffer
      - .actual_access:  read_only
        .address_space:  global
        .offset:         80
        .size:           8
        .value_kind:     global_buffer
      - .actual_access:  write_only
        .address_space:  global
        .offset:         88
        .size:           8
        .value_kind:     global_buffer
    .group_segment_fixed_size: 0
    .kernarg_segment_align: 8
    .kernarg_segment_size: 96
    .language:       OpenCL C
    .language_version:
      - 2
      - 0
    .max_flat_workgroup_size: 60
    .name:           fft_rtc_back_len48_factors_4_2_6_wgs_60_tpt_6_halfLds_dim1_sp_op_CI_CI_unitstride_sbrr_C2R_dirReg
    .private_segment_fixed_size: 0
    .sgpr_count:     18
    .sgpr_spill_count: 0
    .symbol:         fft_rtc_back_len48_factors_4_2_6_wgs_60_tpt_6_halfLds_dim1_sp_op_CI_CI_unitstride_sbrr_C2R_dirReg.kd
    .uniform_work_group_size: 1
    .uses_dynamic_stack: false
    .vgpr_count:     44
    .vgpr_spill_count: 0
    .wavefront_size: 64
amdhsa.target:   amdgcn-amd-amdhsa--gfx906
amdhsa.version:
  - 1
  - 2
...

	.end_amdgpu_metadata
